;; amdgpu-corpus repo=ROCm/rocFFT kind=compiled arch=gfx950 opt=O3
	.text
	.amdgcn_target "amdgcn-amd-amdhsa--gfx950"
	.amdhsa_code_object_version 6
	.protected	fft_rtc_fwd_len324_factors_3_6_6_3_wgs_54_tpt_54_halfLds_sp_ip_CI_unitstride_sbrr_dirReg ; -- Begin function fft_rtc_fwd_len324_factors_3_6_6_3_wgs_54_tpt_54_halfLds_sp_ip_CI_unitstride_sbrr_dirReg
	.globl	fft_rtc_fwd_len324_factors_3_6_6_3_wgs_54_tpt_54_halfLds_sp_ip_CI_unitstride_sbrr_dirReg
	.p2align	8
	.type	fft_rtc_fwd_len324_factors_3_6_6_3_wgs_54_tpt_54_halfLds_sp_ip_CI_unitstride_sbrr_dirReg,@function
fft_rtc_fwd_len324_factors_3_6_6_3_wgs_54_tpt_54_halfLds_sp_ip_CI_unitstride_sbrr_dirReg: ; @fft_rtc_fwd_len324_factors_3_6_6_3_wgs_54_tpt_54_halfLds_sp_ip_CI_unitstride_sbrr_dirReg
; %bb.0:
	s_load_dwordx2 s[8:9], s[0:1], 0x50
	s_load_dwordx4 s[4:7], s[0:1], 0x0
	s_load_dwordx2 s[10:11], s[0:1], 0x18
	v_mul_u32_u24_e32 v1, 0x4be, v0
	v_add_u32_sdwa v6, s2, v1 dst_sel:DWORD dst_unused:UNUSED_PAD src0_sel:DWORD src1_sel:WORD_1
	v_mov_b32_e32 v4, 0
	s_waitcnt lgkmcnt(0)
	v_cmp_lt_u64_e64 s[2:3], s[6:7], 2
	v_mov_b32_e32 v7, v4
	s_and_b64 vcc, exec, s[2:3]
	v_mov_b64_e32 v[2:3], 0
	s_cbranch_vccnz .LBB0_8
; %bb.1:
	s_load_dwordx2 s[2:3], s[0:1], 0x10
	s_add_u32 s12, s10, 8
	s_addc_u32 s13, s11, 0
	s_mov_b64 s[14:15], 1
	v_mov_b64_e32 v[2:3], 0
	s_waitcnt lgkmcnt(0)
	s_add_u32 s16, s2, 8
	s_addc_u32 s17, s3, 0
.LBB0_2:                                ; =>This Inner Loop Header: Depth=1
	s_load_dwordx2 s[18:19], s[16:17], 0x0
                                        ; implicit-def: $vgpr8_vgpr9
	s_waitcnt lgkmcnt(0)
	v_or_b32_e32 v5, s19, v7
	v_cmp_ne_u64_e32 vcc, 0, v[4:5]
	s_and_saveexec_b64 s[2:3], vcc
	s_xor_b64 s[20:21], exec, s[2:3]
	s_cbranch_execz .LBB0_4
; %bb.3:                                ;   in Loop: Header=BB0_2 Depth=1
	v_cvt_f32_u32_e32 v1, s18
	v_cvt_f32_u32_e32 v5, s19
	s_sub_u32 s2, 0, s18
	s_subb_u32 s3, 0, s19
	v_fmac_f32_e32 v1, 0x4f800000, v5
	v_rcp_f32_e32 v1, v1
	s_nop 0
	v_mul_f32_e32 v1, 0x5f7ffffc, v1
	v_mul_f32_e32 v5, 0x2f800000, v1
	v_trunc_f32_e32 v5, v5
	v_fmac_f32_e32 v1, 0xcf800000, v5
	v_cvt_u32_f32_e32 v5, v5
	v_cvt_u32_f32_e32 v1, v1
	v_mul_lo_u32 v8, s2, v5
	v_mul_hi_u32 v10, s2, v1
	v_mul_lo_u32 v9, s3, v1
	v_add_u32_e32 v10, v10, v8
	v_mul_lo_u32 v12, s2, v1
	v_add_u32_e32 v13, v10, v9
	v_mul_hi_u32 v8, v1, v12
	v_mul_hi_u32 v11, v1, v13
	v_mul_lo_u32 v10, v1, v13
	v_mov_b32_e32 v9, v4
	v_lshl_add_u64 v[8:9], v[8:9], 0, v[10:11]
	v_mul_hi_u32 v11, v5, v12
	v_mul_lo_u32 v12, v5, v12
	v_add_co_u32_e32 v8, vcc, v8, v12
	v_mul_hi_u32 v10, v5, v13
	s_nop 0
	v_addc_co_u32_e32 v8, vcc, v9, v11, vcc
	v_mov_b32_e32 v9, v4
	s_nop 0
	v_addc_co_u32_e32 v11, vcc, 0, v10, vcc
	v_mul_lo_u32 v10, v5, v13
	v_lshl_add_u64 v[8:9], v[8:9], 0, v[10:11]
	v_add_co_u32_e32 v1, vcc, v1, v8
	v_mul_lo_u32 v10, s2, v1
	s_nop 0
	v_addc_co_u32_e32 v5, vcc, v5, v9, vcc
	v_mul_lo_u32 v8, s2, v5
	v_mul_hi_u32 v9, s2, v1
	v_add_u32_e32 v8, v9, v8
	v_mul_lo_u32 v9, s3, v1
	v_add_u32_e32 v12, v8, v9
	v_mul_hi_u32 v14, v5, v10
	v_mul_lo_u32 v15, v5, v10
	v_mul_hi_u32 v9, v1, v12
	v_mul_lo_u32 v8, v1, v12
	v_mul_hi_u32 v10, v1, v10
	v_mov_b32_e32 v11, v4
	v_lshl_add_u64 v[8:9], v[10:11], 0, v[8:9]
	v_add_co_u32_e32 v8, vcc, v8, v15
	v_mul_hi_u32 v13, v5, v12
	s_nop 0
	v_addc_co_u32_e32 v8, vcc, v9, v14, vcc
	v_mul_lo_u32 v10, v5, v12
	s_nop 0
	v_addc_co_u32_e32 v11, vcc, 0, v13, vcc
	v_mov_b32_e32 v9, v4
	v_lshl_add_u64 v[8:9], v[8:9], 0, v[10:11]
	v_add_co_u32_e32 v1, vcc, v1, v8
	v_mul_hi_u32 v10, v6, v1
	s_nop 0
	v_addc_co_u32_e32 v5, vcc, v5, v9, vcc
	v_mad_u64_u32 v[8:9], s[2:3], v6, v5, 0
	v_mov_b32_e32 v11, v4
	v_lshl_add_u64 v[8:9], v[10:11], 0, v[8:9]
	v_mad_u64_u32 v[12:13], s[2:3], v7, v1, 0
	v_add_co_u32_e32 v1, vcc, v8, v12
	v_mad_u64_u32 v[10:11], s[2:3], v7, v5, 0
	s_nop 0
	v_addc_co_u32_e32 v8, vcc, v9, v13, vcc
	v_mov_b32_e32 v9, v4
	s_nop 0
	v_addc_co_u32_e32 v11, vcc, 0, v11, vcc
	v_lshl_add_u64 v[8:9], v[8:9], 0, v[10:11]
	v_mul_lo_u32 v1, s19, v8
	v_mul_lo_u32 v5, s18, v9
	v_mad_u64_u32 v[10:11], s[2:3], s18, v8, 0
	v_add3_u32 v1, v11, v5, v1
	v_sub_u32_e32 v5, v7, v1
	v_mov_b32_e32 v11, s19
	v_sub_co_u32_e32 v14, vcc, v6, v10
	v_lshl_add_u64 v[12:13], v[8:9], 0, 1
	s_nop 0
	v_subb_co_u32_e64 v5, s[2:3], v5, v11, vcc
	v_subrev_co_u32_e64 v10, s[2:3], s18, v14
	v_subb_co_u32_e32 v1, vcc, v7, v1, vcc
	s_nop 0
	v_subbrev_co_u32_e64 v5, s[2:3], 0, v5, s[2:3]
	v_cmp_le_u32_e64 s[2:3], s19, v5
	v_cmp_le_u32_e32 vcc, s19, v1
	s_nop 0
	v_cndmask_b32_e64 v11, 0, -1, s[2:3]
	v_cmp_le_u32_e64 s[2:3], s18, v10
	s_nop 1
	v_cndmask_b32_e64 v10, 0, -1, s[2:3]
	v_cmp_eq_u32_e64 s[2:3], s19, v5
	s_nop 1
	v_cndmask_b32_e64 v5, v11, v10, s[2:3]
	v_lshl_add_u64 v[10:11], v[8:9], 0, 2
	v_cmp_ne_u32_e64 s[2:3], 0, v5
	s_nop 1
	v_cndmask_b32_e64 v5, v13, v11, s[2:3]
	v_cndmask_b32_e64 v11, 0, -1, vcc
	v_cmp_le_u32_e32 vcc, s18, v14
	s_nop 1
	v_cndmask_b32_e64 v13, 0, -1, vcc
	v_cmp_eq_u32_e32 vcc, s19, v1
	s_nop 1
	v_cndmask_b32_e32 v1, v11, v13, vcc
	v_cmp_ne_u32_e32 vcc, 0, v1
	v_cndmask_b32_e64 v1, v12, v10, s[2:3]
	s_nop 0
	v_cndmask_b32_e32 v9, v9, v5, vcc
	v_cndmask_b32_e32 v8, v8, v1, vcc
.LBB0_4:                                ;   in Loop: Header=BB0_2 Depth=1
	s_andn2_saveexec_b64 s[2:3], s[20:21]
	s_cbranch_execz .LBB0_6
; %bb.5:                                ;   in Loop: Header=BB0_2 Depth=1
	v_cvt_f32_u32_e32 v1, s18
	s_sub_i32 s20, 0, s18
	v_rcp_iflag_f32_e32 v1, v1
	s_nop 0
	v_mul_f32_e32 v1, 0x4f7ffffe, v1
	v_cvt_u32_f32_e32 v1, v1
	v_mul_lo_u32 v5, s20, v1
	v_mul_hi_u32 v5, v1, v5
	v_add_u32_e32 v1, v1, v5
	v_mul_hi_u32 v1, v6, v1
	v_mul_lo_u32 v5, v1, s18
	v_sub_u32_e32 v5, v6, v5
	v_add_u32_e32 v8, 1, v1
	v_subrev_u32_e32 v9, s18, v5
	v_cmp_le_u32_e32 vcc, s18, v5
	s_nop 1
	v_cndmask_b32_e32 v5, v5, v9, vcc
	v_cndmask_b32_e32 v1, v1, v8, vcc
	v_add_u32_e32 v8, 1, v1
	v_cmp_le_u32_e32 vcc, s18, v5
	v_mov_b32_e32 v9, v4
	s_nop 0
	v_cndmask_b32_e32 v8, v1, v8, vcc
.LBB0_6:                                ;   in Loop: Header=BB0_2 Depth=1
	s_or_b64 exec, exec, s[2:3]
	v_mad_u64_u32 v[10:11], s[2:3], v8, s18, 0
	s_load_dwordx2 s[2:3], s[12:13], 0x0
	v_mul_lo_u32 v1, v9, s18
	v_mul_lo_u32 v5, v8, s19
	v_add3_u32 v1, v11, v5, v1
	v_sub_co_u32_e32 v5, vcc, v6, v10
	s_add_u32 s14, s14, 1
	s_nop 0
	v_subb_co_u32_e32 v1, vcc, v7, v1, vcc
	s_addc_u32 s15, s15, 0
	s_waitcnt lgkmcnt(0)
	v_mul_lo_u32 v1, s2, v1
	v_mul_lo_u32 v6, s3, v5
	v_mad_u64_u32 v[2:3], s[2:3], s2, v5, v[2:3]
	s_add_u32 s12, s12, 8
	v_add3_u32 v3, v6, v3, v1
	s_addc_u32 s13, s13, 0
	v_mov_b64_e32 v[6:7], s[6:7]
	s_add_u32 s16, s16, 8
	v_cmp_ge_u64_e32 vcc, s[14:15], v[6:7]
	s_addc_u32 s17, s17, 0
	s_cbranch_vccnz .LBB0_9
; %bb.7:                                ;   in Loop: Header=BB0_2 Depth=1
	v_mov_b64_e32 v[6:7], v[8:9]
	s_branch .LBB0_2
.LBB0_8:
	v_mov_b64_e32 v[8:9], v[6:7]
.LBB0_9:
	s_lshl_b64 s[2:3], s[6:7], 3
	s_add_u32 s2, s10, s2
	s_addc_u32 s3, s11, s3
	s_load_dwordx2 s[6:7], s[2:3], 0x0
	s_load_dwordx2 s[10:11], s[0:1], 0x20
                                        ; implicit-def: $vgpr6
                                        ; implicit-def: $vgpr14
                                        ; implicit-def: $vgpr10
                                        ; implicit-def: $vgpr12
                                        ; implicit-def: $vgpr18
                                        ; implicit-def: $vgpr16
	s_waitcnt lgkmcnt(0)
	v_mad_u64_u32 v[2:3], s[0:1], s6, v8, v[2:3]
	v_mul_lo_u32 v1, s6, v9
	v_mul_lo_u32 v4, s7, v8
	s_mov_b32 s0, 0x4bda130
	v_add3_u32 v3, v4, v3, v1
	v_mul_hi_u32 v1, v0, s0
	v_mul_u32_u24_e32 v1, 54, v1
	v_cmp_gt_u64_e32 vcc, s[10:11], v[8:9]
	v_sub_u32_e32 v0, v0, v1
	v_lshl_add_u64 v[2:3], v[2:3], 3, s[8:9]
                                        ; implicit-def: $vgpr4
                                        ; implicit-def: $vgpr8
	s_and_saveexec_b64 s[0:1], vcc
	s_cbranch_execz .LBB0_11
; %bb.10:
	v_mov_b32_e32 v1, 0
	v_lshl_add_u64 v[10:11], v[0:1], 3, v[2:3]
	global_load_dwordx2 v[18:19], v[10:11], off
	global_load_dwordx2 v[6:7], v[10:11], off offset:1296
	global_load_dwordx2 v[12:13], v[10:11], off offset:864
	global_load_dwordx2 v[14:15], v[10:11], off offset:432
	global_load_dwordx2 v[8:9], v[10:11], off offset:1728
	global_load_dwordx2 v[4:5], v[10:11], off offset:2160
	s_waitcnt vmcnt(5)
	v_mov_b32_e32 v16, v19
	s_waitcnt vmcnt(2)
	v_mov_b32_e32 v10, v15
.LBB0_11:
	s_or_b64 exec, exec, s[0:1]
	s_waitcnt vmcnt(1)
	v_pk_add_f32 v[20:21], v[8:9], v[12:13]
	v_mov_b32_e32 v22, v12
	v_mul_f32_e32 v23, 0.5, v20
	v_pk_add_f32 v[24:25], v[12:13], v[8:9] neg_lo:[0,1] neg_hi:[0,1]
	v_pk_add_f32 v[38:39], v[18:19], v[12:13]
	v_pk_add_f32 v[18:19], v[18:19], v[22:23] op_sel_hi:[0,1] neg_lo:[0,1] neg_hi:[0,1]
	v_mul_f32_e32 v27, 0x3f5db3d7, v25
	s_waitcnt vmcnt(0)
	v_pk_add_f32 v[28:29], v[4:5], v[6:7]
	v_mov_b32_e32 v39, v19
	v_mov_b32_e32 v26, v8
	v_mul_f32_e32 v31, 0.5, v28
	v_mad_u32_u24 v1, v0, 12, 0
	v_pk_add_f32 v[22:23], v[26:27], v[38:39]
	v_mov_b32_e32 v30, v6
	v_pk_add_f32 v[32:33], v[6:7], v[4:5] neg_lo:[0,1] neg_hi:[0,1]
	ds_write2_b32 v1, v22, v23 offset1:1
	v_pk_add_f32 v[22:23], v[14:15], v[6:7]
	v_pk_add_f32 v[14:15], v[14:15], v[30:31] op_sel_hi:[0,1] neg_lo:[0,1] neg_hi:[0,1]
	v_mul_f32_e32 v35, 0x3f5db3d7, v33
	v_mov_b32_e32 v23, v15
	v_mov_b32_e32 v34, v4
	v_mul_f32_e32 v21, 0.5, v21
	v_mul_f32_e32 v17, 0x3f5db3d7, v24
	v_pk_add_f32 v[22:23], v[34:35], v[22:23]
	v_fmac_f32_e32 v15, 0xbf5db3d7, v33
	v_lshlrev_b32_e32 v11, 3, v0
	v_mov_b32_e32 v4, v13
	v_mov_b32_e32 v20, v13
	v_fmac_f32_e32 v19, 0xbf5db3d7, v25
	ds_write2_b32 v1, v22, v23 offset0:162 offset1:163
	ds_write2_b32 v1, v19, v15 offset0:2 offset1:164
	v_sub_u32_e32 v30, v1, v11
	v_pk_add_f32 v[12:13], v[16:17], v[4:5] op_sel_hi:[0,1]
	v_pk_add_f32 v[14:15], v[16:17], v[20:21] op_sel_hi:[0,1] neg_lo:[0,1] neg_hi:[0,1]
	v_mov_b32_e32 v4, v9
	v_mov_b32_e32 v16, v9
	v_mul_f32_e32 v29, 0.5, v29
	v_add_u32_e32 v31, 0x200, v30
	v_pk_add_f32 v[8:9], v[12:13], v[4:5] op_sel_hi:[1,0]
	v_pk_add_f32 v[12:13], v[14:15], v[16:17] neg_lo:[0,1] neg_hi:[0,1]
	v_mov_b32_e32 v4, v7
	v_mov_b32_e32 v28, v7
	v_mul_f32_e32 v37, 0x3f5db3d7, v32
	s_waitcnt lgkmcnt(0)
	; wave barrier
	s_waitcnt lgkmcnt(0)
	ds_read2_b32 v[18:19], v30 offset1:54
	ds_read2_b32 v[22:23], v30 offset0:108 offset1:162
	ds_read2_b32 v[26:27], v31 offset0:88 offset1:142
	s_waitcnt lgkmcnt(0)
	; wave barrier
	s_waitcnt lgkmcnt(0)
	ds_write2_b32 v1, v8, v13 offset1:1
	v_pk_add_f32 v[6:7], v[10:11], v[4:5] op_sel_hi:[0,1]
	v_pk_add_f32 v[8:9], v[10:11], v[28:29] op_sel_hi:[0,1] neg_lo:[0,1] neg_hi:[0,1]
	v_mov_b32_e32 v4, v5
	v_mov_b32_e32 v36, v5
	v_pk_add_f32 v[4:5], v[6:7], v[4:5] op_sel_hi:[1,0]
	v_pk_add_f32 v[6:7], v[8:9], v[36:37] neg_lo:[0,1] neg_hi:[0,1]
	s_movk_i32 s0, 0xab
	v_fmac_f32_e32 v15, 0x3f5db3d7, v24
	v_fmac_f32_e32 v9, 0x3f5db3d7, v32
	ds_write2_b32 v1, v4, v7 offset0:162 offset1:163
	ds_write2_b32 v1, v15, v9 offset0:2 offset1:164
	v_mul_lo_u16_sdwa v4, v0, s0 dst_sel:DWORD dst_unused:UNUSED_PAD src0_sel:BYTE_0 src1_sel:DWORD
	v_lshrrev_b16_e32 v10, 9, v4
	v_mul_lo_u16_e32 v4, 3, v10
	v_sub_u16_e32 v28, v0, v4
	v_mov_b32_e32 v29, 5
	v_mul_u32_u24_sdwa v4, v28, v29 dst_sel:DWORD dst_unused:UNUSED_PAD src0_sel:BYTE_0 src1_sel:DWORD
	v_lshlrev_b32_e32 v16, 3, v4
	s_waitcnt lgkmcnt(0)
	; wave barrier
	s_waitcnt lgkmcnt(0)
	global_load_dwordx4 v[4:7], v16, s[4:5]
	global_load_dwordx4 v[12:15], v16, s[4:5] offset:16
	global_load_dwordx2 v[8:9], v16, s[4:5] offset:32
	ds_read2_b32 v[16:17], v30 offset1:54
	ds_read2_b32 v[20:21], v30 offset0:108 offset1:162
	ds_read2_b32 v[24:25], v31 offset0:88 offset1:142
	v_mul_u32_u24_e32 v10, 0x48, v10
	s_waitcnt lgkmcnt(0)
	; wave barrier
	s_waitcnt lgkmcnt(0)
	s_mov_b32 s0, 0x3f5db3d7
	s_waitcnt vmcnt(2)
	v_mul_f32_e32 v32, v17, v5
	v_mul_f32_e32 v5, v19, v5
	;; [unrolled: 1-line block ×4, first 2 shown]
	s_waitcnt vmcnt(1)
	v_mul_f32_e32 v34, v21, v13
	v_mul_f32_e32 v13, v23, v13
	v_fma_f32 v19, v19, v4, -v32
	v_fmac_f32_e32 v5, v17, v4
	v_fma_f32 v4, v22, v6, -v33
	v_fmac_f32_e32 v7, v20, v6
	;; [unrolled: 2-line block ×3, first 2 shown]
	v_mul_f32_e32 v12, v24, v15
	v_fma_f32 v12, v26, v14, -v12
	v_mul_f32_e32 v15, v26, v15
	v_fmac_f32_e32 v15, v24, v14
	s_waitcnt vmcnt(0)
	v_mul_f32_e32 v14, v25, v9
	v_mul_f32_e32 v9, v27, v9
	v_add_f32_e32 v17, v4, v12
	v_fma_f32 v14, v27, v8, -v14
	v_fmac_f32_e32 v9, v25, v8
	v_add_f32_e32 v8, v18, v4
	v_fmac_f32_e32 v18, -0.5, v17
	v_sub_f32_e32 v17, v7, v15
	v_fmamk_f32 v20, v17, 0x3f5db3d7, v18
	v_fmac_f32_e32 v18, 0xbf5db3d7, v17
	v_add_f32_e32 v17, v16, v7
	v_add_f32_e32 v7, v7, v15
	;; [unrolled: 1-line block ×3, first 2 shown]
	v_fmac_f32_e32 v16, -0.5, v7
	v_sub_f32_e32 v4, v4, v12
	v_add_f32_e32 v12, v6, v14
	v_fmamk_f32 v7, v4, 0xbf5db3d7, v16
	v_fmac_f32_e32 v16, 0x3f5db3d7, v4
	v_add_f32_e32 v4, v19, v6
	v_fmac_f32_e32 v19, -0.5, v12
	v_sub_f32_e32 v12, v13, v9
	v_add_f32_e32 v17, v17, v15
	v_fmamk_f32 v15, v12, 0x3f5db3d7, v19
	v_fmac_f32_e32 v19, 0xbf5db3d7, v12
	v_add_f32_e32 v12, v5, v13
	v_add_f32_e32 v12, v12, v9
	v_add_f32_e32 v9, v13, v9
	v_fmac_f32_e32 v5, -0.5, v9
	v_sub_f32_e32 v6, v6, v14
	v_fmamk_f32 v9, v6, 0xbf5db3d7, v5
	v_mul_f32_e32 v13, 0x3f5db3d7, v9
	v_add_f32_e32 v4, v4, v14
	v_fmac_f32_e32 v13, 0.5, v15
	v_mov_b32_e32 v32, 2
	v_fmac_f32_e32 v5, 0x3f5db3d7, v6
	v_add_f32_e32 v6, v8, v4
	v_add_f32_e32 v14, v20, v13
	v_mul_f32_e32 v21, -0.5, v19
	v_sub_f32_e32 v4, v8, v4
	v_sub_f32_e32 v8, v20, v13
	v_lshlrev_b32_sdwa v13, v32, v28 dst_sel:DWORD dst_unused:UNUSED_PAD src0_sel:DWORD src1_sel:BYTE_0
	v_fmac_f32_e32 v21, 0x3f5db3d7, v5
	v_mul_f32_e32 v15, 0xbf5db3d7, v15
	v_add3_u32 v10, 0, v10, v13
	v_add_f32_e32 v22, v18, v21
	v_fmac_f32_e32 v15, 0.5, v9
	v_mul_f32_e32 v5, -0.5, v5
	v_sub_f32_e32 v9, v18, v21
	ds_write2_b32 v10, v6, v14 offset1:3
	ds_write2_b32 v10, v22, v4 offset0:6 offset1:9
	ds_write2_b32 v10, v8, v9 offset0:12 offset1:15
	v_mov_b32_e32 v4, 57
	v_add_f32_e32 v23, v17, v12
	v_add_f32_e32 v24, v7, v15
	v_fmac_f32_e32 v5, 0xbf5db3d7, v19
	v_mul_lo_u16_sdwa v4, v0, v4 dst_sel:DWORD dst_unused:UNUSED_PAD src0_sel:BYTE_0 src1_sel:DWORD
	v_add_f32_e32 v25, v16, v5
	v_sub_f32_e32 v12, v17, v12
	v_sub_f32_e32 v7, v7, v15
	;; [unrolled: 1-line block ×3, first 2 shown]
	s_waitcnt lgkmcnt(0)
	; wave barrier
	s_waitcnt lgkmcnt(0)
	ds_read2_b32 v[8:9], v30 offset1:54
	ds_read2_b32 v[16:17], v30 offset0:108 offset1:162
	ds_read2_b32 v[18:19], v31 offset0:88 offset1:142
	s_waitcnt lgkmcnt(0)
	; wave barrier
	s_waitcnt lgkmcnt(0)
	ds_write2_b32 v10, v23, v24 offset1:3
	ds_write2_b32 v10, v25, v12 offset0:6 offset1:9
	ds_write2_b32 v10, v7, v5 offset0:12 offset1:15
	v_lshrrev_b16_e32 v10, 10, v4
	v_mul_lo_u16_e32 v4, 18, v10
	v_sub_u16_e32 v28, v0, v4
	v_mul_u32_u24_sdwa v4, v28, v29 dst_sel:DWORD dst_unused:UNUSED_PAD src0_sel:BYTE_0 src1_sel:DWORD
	v_lshlrev_b32_e32 v22, 3, v4
	s_waitcnt lgkmcnt(0)
	; wave barrier
	s_waitcnt lgkmcnt(0)
	global_load_dwordx4 v[4:7], v22, s[4:5] offset:120
	global_load_dwordx4 v[12:15], v22, s[4:5] offset:136
	global_load_dwordx2 v[20:21], v22, s[4:5] offset:152
	ds_read2_b32 v[22:23], v30 offset1:54
	ds_read2_b32 v[24:25], v30 offset0:108 offset1:162
	ds_read2_b32 v[26:27], v31 offset0:88 offset1:142
	s_waitcnt lgkmcnt(0)
	; wave barrier
	s_waitcnt vmcnt(2) lgkmcnt(0)
	v_mul_f32_e32 v29, v23, v5
	v_mul_f32_e32 v5, v9, v5
	v_fma_f32 v29, v9, v4, -v29
	v_fmac_f32_e32 v5, v23, v4
	v_mul_f32_e32 v4, v24, v7
	v_mul_f32_e32 v7, v16, v7
	v_fma_f32 v4, v16, v6, -v4
	v_fmac_f32_e32 v7, v24, v6
	s_waitcnt vmcnt(1)
	v_mul_f32_e32 v6, v25, v13
	v_mul_f32_e32 v9, v17, v13
	v_fma_f32 v6, v17, v12, -v6
	v_fmac_f32_e32 v9, v25, v12
	v_mul_f32_e32 v12, v26, v15
	v_fma_f32 v12, v18, v14, -v12
	v_mul_f32_e32 v13, v18, v15
	v_fmac_f32_e32 v13, v26, v14
	v_add_f32_e32 v17, v4, v12
	s_waitcnt vmcnt(0)
	v_mul_f32_e32 v14, v27, v21
	v_add_f32_e32 v16, v8, v4
	v_fmac_f32_e32 v8, -0.5, v17
	v_sub_f32_e32 v17, v7, v13
	v_fma_f32 v14, v19, v20, -v14
	v_mul_f32_e32 v15, v19, v21
	v_fmamk_f32 v18, v17, 0x3f5db3d7, v8
	v_fmac_f32_e32 v8, 0xbf5db3d7, v17
	v_add_f32_e32 v17, v22, v7
	v_add_f32_e32 v7, v7, v13
	v_fmac_f32_e32 v15, v27, v20
	v_add_f32_e32 v16, v16, v12
	v_fmac_f32_e32 v22, -0.5, v7
	v_sub_f32_e32 v4, v4, v12
	v_add_f32_e32 v12, v6, v14
	v_fmamk_f32 v7, v4, 0xbf5db3d7, v22
	v_fmac_f32_e32 v22, 0x3f5db3d7, v4
	v_add_f32_e32 v4, v29, v6
	v_fmac_f32_e32 v29, -0.5, v12
	v_sub_f32_e32 v12, v9, v15
	v_add_f32_e32 v17, v17, v13
	v_fmamk_f32 v13, v12, 0x3f5db3d7, v29
	v_fmac_f32_e32 v29, 0xbf5db3d7, v12
	v_add_f32_e32 v12, v5, v9
	v_add_f32_e32 v9, v9, v15
	v_fmac_f32_e32 v5, -0.5, v9
	v_sub_f32_e32 v6, v6, v14
	v_fmamk_f32 v9, v6, 0xbf5db3d7, v5
	v_add_f32_e32 v4, v4, v14
	v_fmac_f32_e32 v5, 0x3f5db3d7, v6
	v_mul_f32_e32 v14, 0x3f5db3d7, v9
	v_mul_f32_e32 v19, -0.5, v29
	v_fmac_f32_e32 v14, 0.5, v13
	v_fmac_f32_e32 v19, 0x3f5db3d7, v5
	v_mul_f32_e32 v13, 0xbf5db3d7, v13
	v_mul_f32_e32 v5, -0.5, v5
	v_fmac_f32_e32 v13, 0.5, v9
	v_fmac_f32_e32 v5, 0xbf5db3d7, v29
	v_add_f32_e32 v12, v12, v15
	v_add_f32_e32 v15, v18, v14
	;; [unrolled: 1-line block ×4, first 2 shown]
	v_sub_f32_e32 v9, v18, v14
	v_sub_f32_e32 v13, v7, v13
	;; [unrolled: 1-line block ×3, first 2 shown]
	v_mul_u32_u24_e32 v5, 0x1b0, v10
	v_lshlrev_b32_sdwa v7, v32, v28 dst_sel:DWORD dst_unused:UNUSED_PAD src0_sel:DWORD src1_sel:BYTE_0
	v_add_f32_e32 v6, v16, v4
	v_add_f32_e32 v20, v8, v19
	v_sub_f32_e32 v4, v16, v4
	v_sub_f32_e32 v8, v8, v19
	v_add3_u32 v10, 0, v5, v7
	ds_write2_b32 v10, v6, v15 offset1:18
	ds_write2_b32 v10, v20, v4 offset0:36 offset1:54
	ds_write2_b32 v10, v9, v8 offset0:72 offset1:90
	s_waitcnt lgkmcnt(0)
	; wave barrier
	s_waitcnt lgkmcnt(0)
	ds_read2_b32 v[8:9], v30 offset1:54
	ds_read2_b32 v[4:5], v30 offset0:108 offset1:162
	ds_read2_b32 v[6:7], v31 offset0:88 offset1:142
	v_add_f32_e32 v21, v17, v12
	v_sub_f32_e32 v12, v17, v12
	s_waitcnt lgkmcnt(0)
	; wave barrier
	s_waitcnt lgkmcnt(0)
	ds_write2_b32 v10, v21, v23 offset1:18
	ds_write2_b32 v10, v24, v12 offset0:36 offset1:54
	ds_write2_b32 v10, v13, v14 offset0:72 offset1:90
	s_waitcnt lgkmcnt(0)
	; wave barrier
	s_waitcnt lgkmcnt(0)
	s_and_saveexec_b64 s[2:3], vcc
	s_cbranch_execz .LBB0_13
; %bb.12:
	v_add_u32_e32 v27, 54, v0
	v_lshlrev_b32_e32 v20, 1, v27
	v_mov_b32_e32 v21, 0
	v_lshl_add_u64 v[22:23], v[20:21], 3, s[4:5]
	v_lshlrev_b32_e32 v20, 1, v0
	v_lshl_add_u64 v[24:25], v[20:21], 3, s[4:5]
	global_load_dwordx4 v[12:15], v[24:25], off offset:840
	global_load_dwordx4 v[16:19], v[22:23], off offset:840
	v_sub_u32_e32 v11, 0, v11
	v_add_u32_e32 v11, v1, v11
	v_mov_b32_e32 v1, v21
	v_add_u32_e32 v23, 0x200, v11
	ds_read2_b32 v[28:29], v11 offset0:108 offset1:162
	v_lshl_add_u64 v[0:1], v[0:1], 3, v[2:3]
	ds_read2_b32 v[2:3], v23 offset0:88 offset1:142
	ds_read2_b32 v[30:31], v11 offset1:54
	s_mov_b32 s1, 0x4bda12f7
	v_lshrrev_b32_e32 v20, 2, v27
	v_mul_hi_u32 v11, v20, s1
	s_waitcnt lgkmcnt(2)
	v_mov_b32_e32 v32, v29
	s_waitcnt lgkmcnt(1)
	v_mov_b32_e32 v34, v3
	v_mov_b32_e32 v10, v8
	;; [unrolled: 1-line block ×6, first 2 shown]
	v_lshrrev_b32_e32 v11, 3, v11
	v_mul_u32_u24_e32 v20, 0xd8, v11
	s_waitcnt lgkmcnt(0)
	v_mov_b32_e32 v11, v30
	v_mov_b32_e32 v30, v9
	v_lshl_add_u64 v[20:21], v[20:21], 3, v[0:1]
	s_waitcnt vmcnt(1)
	v_pk_mul_f32 v[28:29], v[12:13], v[28:29] op_sel_hi:[1,0]
	v_pk_mul_f32 v[2:3], v[14:15], v[2:3] op_sel_hi:[1,0]
	s_waitcnt vmcnt(0)
	v_pk_mul_f32 v[32:33], v[16:17], v[32:33] op_sel_hi:[1,0]
	v_pk_mul_f32 v[34:35], v[18:19], v[34:35] op_sel_hi:[1,0]
	v_pk_fma_f32 v[36:37], v[4:5], v[12:13], v[28:29] op_sel:[0,0,1] op_sel_hi:[1,1,0] neg_lo:[0,0,1] neg_hi:[0,0,1]
	v_pk_fma_f32 v[4:5], v[4:5], v[12:13], v[28:29] op_sel:[0,0,1] op_sel_hi:[0,1,0]
	v_pk_fma_f32 v[12:13], v[6:7], v[14:15], v[2:3] op_sel:[0,0,1] op_sel_hi:[1,1,0] neg_lo:[0,0,1] neg_hi:[0,0,1]
	v_pk_fma_f32 v[2:3], v[6:7], v[14:15], v[2:3] op_sel:[0,0,1] op_sel_hi:[0,1,0]
	;; [unrolled: 2-line block ×4, first 2 shown]
	v_mov_b32_e32 v37, v5
	v_mov_b32_e32 v13, v3
	;; [unrolled: 1-line block ×4, first 2 shown]
	v_pk_add_f32 v[2:3], v[10:11], v[36:37]
	v_pk_add_f32 v[4:5], v[36:37], v[12:13]
	v_pk_add_f32 v[8:9], v[36:37], v[12:13] neg_lo:[0,1] neg_hi:[0,1]
	v_pk_add_f32 v[16:17], v[30:31], v[6:7]
	v_pk_add_f32 v[18:19], v[6:7], v[14:15]
	v_pk_add_f32 v[6:7], v[6:7], v[14:15] neg_lo:[0,1] neg_hi:[0,1]
	v_pk_add_f32 v[2:3], v[2:3], v[12:13]
	v_pk_fma_f32 v[4:5], v[4:5], 0.5, v[10:11] op_sel_hi:[1,0,1] neg_lo:[1,0,0] neg_hi:[1,0,0]
	v_pk_mul_f32 v[8:9], v[8:9], s[0:1] op_sel_hi:[1,0]
	v_pk_fma_f32 v[12:13], v[18:19], 0.5, v[30:31] op_sel_hi:[1,0,1] neg_lo:[1,0,0] neg_hi:[1,0,0]
	v_pk_mul_f32 v[6:7], v[6:7], s[0:1] op_sel_hi:[1,0]
	global_store_dwordx2 v[0:1], v[2:3], off
	v_pk_add_f32 v[2:3], v[4:5], v[8:9] op_sel:[0,1] op_sel_hi:[1,0]
	v_pk_add_f32 v[4:5], v[4:5], v[8:9] op_sel:[0,1] op_sel_hi:[1,0] neg_lo:[0,1] neg_hi:[0,1]
	v_pk_add_f32 v[8:9], v[12:13], v[6:7] op_sel:[0,1] op_sel_hi:[1,0]
	v_pk_add_f32 v[6:7], v[12:13], v[6:7] op_sel:[0,1] op_sel_hi:[1,0] neg_lo:[0,1] neg_hi:[0,1]
	v_mov_b32_e32 v12, v2
	v_mov_b32_e32 v13, v5
	v_pk_add_f32 v[10:11], v[16:17], v[14:15]
	v_mov_b32_e32 v5, v3
	v_mov_b32_e32 v2, v8
	;; [unrolled: 1-line block ×4, first 2 shown]
	global_store_dwordx2 v[0:1], v[12:13], off offset:864
	global_store_dwordx2 v[0:1], v[4:5], off offset:1728
	;; [unrolled: 1-line block ×5, first 2 shown]
.LBB0_13:
	s_endpgm
	.section	.rodata,"a",@progbits
	.p2align	6, 0x0
	.amdhsa_kernel fft_rtc_fwd_len324_factors_3_6_6_3_wgs_54_tpt_54_halfLds_sp_ip_CI_unitstride_sbrr_dirReg
		.amdhsa_group_segment_fixed_size 0
		.amdhsa_private_segment_fixed_size 0
		.amdhsa_kernarg_size 88
		.amdhsa_user_sgpr_count 2
		.amdhsa_user_sgpr_dispatch_ptr 0
		.amdhsa_user_sgpr_queue_ptr 0
		.amdhsa_user_sgpr_kernarg_segment_ptr 1
		.amdhsa_user_sgpr_dispatch_id 0
		.amdhsa_user_sgpr_kernarg_preload_length 0
		.amdhsa_user_sgpr_kernarg_preload_offset 0
		.amdhsa_user_sgpr_private_segment_size 0
		.amdhsa_uses_dynamic_stack 0
		.amdhsa_enable_private_segment 0
		.amdhsa_system_sgpr_workgroup_id_x 1
		.amdhsa_system_sgpr_workgroup_id_y 0
		.amdhsa_system_sgpr_workgroup_id_z 0
		.amdhsa_system_sgpr_workgroup_info 0
		.amdhsa_system_vgpr_workitem_id 0
		.amdhsa_next_free_vgpr 40
		.amdhsa_next_free_sgpr 22
		.amdhsa_accum_offset 40
		.amdhsa_reserve_vcc 1
		.amdhsa_float_round_mode_32 0
		.amdhsa_float_round_mode_16_64 0
		.amdhsa_float_denorm_mode_32 3
		.amdhsa_float_denorm_mode_16_64 3
		.amdhsa_dx10_clamp 1
		.amdhsa_ieee_mode 1
		.amdhsa_fp16_overflow 0
		.amdhsa_tg_split 0
		.amdhsa_exception_fp_ieee_invalid_op 0
		.amdhsa_exception_fp_denorm_src 0
		.amdhsa_exception_fp_ieee_div_zero 0
		.amdhsa_exception_fp_ieee_overflow 0
		.amdhsa_exception_fp_ieee_underflow 0
		.amdhsa_exception_fp_ieee_inexact 0
		.amdhsa_exception_int_div_zero 0
	.end_amdhsa_kernel
	.text
.Lfunc_end0:
	.size	fft_rtc_fwd_len324_factors_3_6_6_3_wgs_54_tpt_54_halfLds_sp_ip_CI_unitstride_sbrr_dirReg, .Lfunc_end0-fft_rtc_fwd_len324_factors_3_6_6_3_wgs_54_tpt_54_halfLds_sp_ip_CI_unitstride_sbrr_dirReg
                                        ; -- End function
	.section	.AMDGPU.csdata,"",@progbits
; Kernel info:
; codeLenInByte = 3344
; NumSgprs: 28
; NumVgprs: 40
; NumAgprs: 0
; TotalNumVgprs: 40
; ScratchSize: 0
; MemoryBound: 0
; FloatMode: 240
; IeeeMode: 1
; LDSByteSize: 0 bytes/workgroup (compile time only)
; SGPRBlocks: 3
; VGPRBlocks: 4
; NumSGPRsForWavesPerEU: 28
; NumVGPRsForWavesPerEU: 40
; AccumOffset: 40
; Occupancy: 8
; WaveLimiterHint : 1
; COMPUTE_PGM_RSRC2:SCRATCH_EN: 0
; COMPUTE_PGM_RSRC2:USER_SGPR: 2
; COMPUTE_PGM_RSRC2:TRAP_HANDLER: 0
; COMPUTE_PGM_RSRC2:TGID_X_EN: 1
; COMPUTE_PGM_RSRC2:TGID_Y_EN: 0
; COMPUTE_PGM_RSRC2:TGID_Z_EN: 0
; COMPUTE_PGM_RSRC2:TIDIG_COMP_CNT: 0
; COMPUTE_PGM_RSRC3_GFX90A:ACCUM_OFFSET: 9
; COMPUTE_PGM_RSRC3_GFX90A:TG_SPLIT: 0
	.text
	.p2alignl 6, 3212836864
	.fill 256, 4, 3212836864
	.type	__hip_cuid_ad077726bf80063d,@object ; @__hip_cuid_ad077726bf80063d
	.section	.bss,"aw",@nobits
	.globl	__hip_cuid_ad077726bf80063d
__hip_cuid_ad077726bf80063d:
	.byte	0                               ; 0x0
	.size	__hip_cuid_ad077726bf80063d, 1

	.ident	"AMD clang version 19.0.0git (https://github.com/RadeonOpenCompute/llvm-project roc-6.4.0 25133 c7fe45cf4b819c5991fe208aaa96edf142730f1d)"
	.section	".note.GNU-stack","",@progbits
	.addrsig
	.addrsig_sym __hip_cuid_ad077726bf80063d
	.amdgpu_metadata
---
amdhsa.kernels:
  - .agpr_count:     0
    .args:
      - .actual_access:  read_only
        .address_space:  global
        .offset:         0
        .size:           8
        .value_kind:     global_buffer
      - .offset:         8
        .size:           8
        .value_kind:     by_value
      - .actual_access:  read_only
        .address_space:  global
        .offset:         16
        .size:           8
        .value_kind:     global_buffer
      - .actual_access:  read_only
        .address_space:  global
        .offset:         24
        .size:           8
        .value_kind:     global_buffer
      - .offset:         32
        .size:           8
        .value_kind:     by_value
      - .actual_access:  read_only
        .address_space:  global
        .offset:         40
        .size:           8
        .value_kind:     global_buffer
      - .actual_access:  read_only
        .address_space:  global
        .offset:         48
        .size:           8
        .value_kind:     global_buffer
      - .offset:         56
        .size:           4
        .value_kind:     by_value
      - .actual_access:  read_only
        .address_space:  global
        .offset:         64
        .size:           8
        .value_kind:     global_buffer
      - .actual_access:  read_only
        .address_space:  global
        .offset:         72
        .size:           8
        .value_kind:     global_buffer
      - .address_space:  global
        .offset:         80
        .size:           8
        .value_kind:     global_buffer
    .group_segment_fixed_size: 0
    .kernarg_segment_align: 8
    .kernarg_segment_size: 88
    .language:       OpenCL C
    .language_version:
      - 2
      - 0
    .max_flat_workgroup_size: 54
    .name:           fft_rtc_fwd_len324_factors_3_6_6_3_wgs_54_tpt_54_halfLds_sp_ip_CI_unitstride_sbrr_dirReg
    .private_segment_fixed_size: 0
    .sgpr_count:     28
    .sgpr_spill_count: 0
    .symbol:         fft_rtc_fwd_len324_factors_3_6_6_3_wgs_54_tpt_54_halfLds_sp_ip_CI_unitstride_sbrr_dirReg.kd
    .uniform_work_group_size: 1
    .uses_dynamic_stack: false
    .vgpr_count:     40
    .vgpr_spill_count: 0
    .wavefront_size: 64
amdhsa.target:   amdgcn-amd-amdhsa--gfx950
amdhsa.version:
  - 1
  - 2
...

	.end_amdgpu_metadata
